;; amdgpu-corpus repo=ROCm/rocFFT kind=compiled arch=gfx906 opt=O3
	.text
	.amdgcn_target "amdgcn-amd-amdhsa--gfx906"
	.amdhsa_code_object_version 6
	.protected	fft_rtc_back_len648_factors_8_3_3_3_3_wgs_216_tpt_216_halfLds_sp_ip_CI_unitstride_sbrr_dirReg ; -- Begin function fft_rtc_back_len648_factors_8_3_3_3_3_wgs_216_tpt_216_halfLds_sp_ip_CI_unitstride_sbrr_dirReg
	.globl	fft_rtc_back_len648_factors_8_3_3_3_3_wgs_216_tpt_216_halfLds_sp_ip_CI_unitstride_sbrr_dirReg
	.p2align	8
	.type	fft_rtc_back_len648_factors_8_3_3_3_3_wgs_216_tpt_216_halfLds_sp_ip_CI_unitstride_sbrr_dirReg,@function
fft_rtc_back_len648_factors_8_3_3_3_3_wgs_216_tpt_216_halfLds_sp_ip_CI_unitstride_sbrr_dirReg: ; @fft_rtc_back_len648_factors_8_3_3_3_3_wgs_216_tpt_216_halfLds_sp_ip_CI_unitstride_sbrr_dirReg
; %bb.0:
	s_load_dwordx2 s[2:3], s[4:5], 0x50
	s_load_dwordx4 s[8:11], s[4:5], 0x0
	s_load_dwordx2 s[12:13], s[4:5], 0x18
	v_mul_u32_u24_e32 v1, 0x130, v0
	v_add_u32_sdwa v5, s6, v1 dst_sel:DWORD dst_unused:UNUSED_PAD src0_sel:DWORD src1_sel:WORD_1
	v_mov_b32_e32 v3, 0
	s_waitcnt lgkmcnt(0)
	v_cmp_lt_u64_e64 s[0:1], s[10:11], 2
	v_mov_b32_e32 v1, 0
	v_mov_b32_e32 v6, v3
	s_and_b64 vcc, exec, s[0:1]
	v_mov_b32_e32 v2, 0
	s_cbranch_vccnz .LBB0_8
; %bb.1:
	s_load_dwordx2 s[0:1], s[4:5], 0x10
	s_add_u32 s6, s12, 8
	s_addc_u32 s7, s13, 0
	v_mov_b32_e32 v1, 0
	v_mov_b32_e32 v2, 0
	s_waitcnt lgkmcnt(0)
	s_add_u32 s14, s0, 8
	s_addc_u32 s15, s1, 0
	s_mov_b64 s[16:17], 1
.LBB0_2:                                ; =>This Inner Loop Header: Depth=1
	s_load_dwordx2 s[18:19], s[14:15], 0x0
                                        ; implicit-def: $vgpr7_vgpr8
	s_waitcnt lgkmcnt(0)
	v_or_b32_e32 v4, s19, v6
	v_cmp_ne_u64_e32 vcc, 0, v[3:4]
	s_and_saveexec_b64 s[0:1], vcc
	s_xor_b64 s[20:21], exec, s[0:1]
	s_cbranch_execz .LBB0_4
; %bb.3:                                ;   in Loop: Header=BB0_2 Depth=1
	v_cvt_f32_u32_e32 v4, s18
	v_cvt_f32_u32_e32 v7, s19
	s_sub_u32 s0, 0, s18
	s_subb_u32 s1, 0, s19
	v_mac_f32_e32 v4, 0x4f800000, v7
	v_rcp_f32_e32 v4, v4
	v_mul_f32_e32 v4, 0x5f7ffffc, v4
	v_mul_f32_e32 v7, 0x2f800000, v4
	v_trunc_f32_e32 v7, v7
	v_mac_f32_e32 v4, 0xcf800000, v7
	v_cvt_u32_f32_e32 v7, v7
	v_cvt_u32_f32_e32 v4, v4
	v_mul_lo_u32 v8, s0, v7
	v_mul_hi_u32 v9, s0, v4
	v_mul_lo_u32 v11, s1, v4
	v_mul_lo_u32 v10, s0, v4
	v_add_u32_e32 v8, v9, v8
	v_add_u32_e32 v8, v8, v11
	v_mul_hi_u32 v9, v4, v10
	v_mul_lo_u32 v11, v4, v8
	v_mul_hi_u32 v13, v4, v8
	v_mul_hi_u32 v12, v7, v10
	v_mul_lo_u32 v10, v7, v10
	v_mul_hi_u32 v14, v7, v8
	v_add_co_u32_e32 v9, vcc, v9, v11
	v_addc_co_u32_e32 v11, vcc, 0, v13, vcc
	v_mul_lo_u32 v8, v7, v8
	v_add_co_u32_e32 v9, vcc, v9, v10
	v_addc_co_u32_e32 v9, vcc, v11, v12, vcc
	v_addc_co_u32_e32 v10, vcc, 0, v14, vcc
	v_add_co_u32_e32 v8, vcc, v9, v8
	v_addc_co_u32_e32 v9, vcc, 0, v10, vcc
	v_add_co_u32_e32 v4, vcc, v4, v8
	v_addc_co_u32_e32 v7, vcc, v7, v9, vcc
	v_mul_lo_u32 v8, s0, v7
	v_mul_hi_u32 v9, s0, v4
	v_mul_lo_u32 v10, s1, v4
	v_mul_lo_u32 v11, s0, v4
	v_add_u32_e32 v8, v9, v8
	v_add_u32_e32 v8, v8, v10
	v_mul_lo_u32 v12, v4, v8
	v_mul_hi_u32 v13, v4, v11
	v_mul_hi_u32 v14, v4, v8
	;; [unrolled: 1-line block ×3, first 2 shown]
	v_mul_lo_u32 v11, v7, v11
	v_mul_hi_u32 v9, v7, v8
	v_add_co_u32_e32 v12, vcc, v13, v12
	v_addc_co_u32_e32 v13, vcc, 0, v14, vcc
	v_mul_lo_u32 v8, v7, v8
	v_add_co_u32_e32 v11, vcc, v12, v11
	v_addc_co_u32_e32 v10, vcc, v13, v10, vcc
	v_addc_co_u32_e32 v9, vcc, 0, v9, vcc
	v_add_co_u32_e32 v8, vcc, v10, v8
	v_addc_co_u32_e32 v9, vcc, 0, v9, vcc
	v_add_co_u32_e32 v4, vcc, v4, v8
	v_addc_co_u32_e32 v9, vcc, v7, v9, vcc
	v_mad_u64_u32 v[7:8], s[0:1], v5, v9, 0
	v_mul_hi_u32 v10, v5, v4
	v_add_co_u32_e32 v11, vcc, v10, v7
	v_addc_co_u32_e32 v12, vcc, 0, v8, vcc
	v_mad_u64_u32 v[7:8], s[0:1], v6, v4, 0
	v_mad_u64_u32 v[9:10], s[0:1], v6, v9, 0
	v_add_co_u32_e32 v4, vcc, v11, v7
	v_addc_co_u32_e32 v4, vcc, v12, v8, vcc
	v_addc_co_u32_e32 v7, vcc, 0, v10, vcc
	v_add_co_u32_e32 v4, vcc, v4, v9
	v_addc_co_u32_e32 v9, vcc, 0, v7, vcc
	v_mul_lo_u32 v10, s19, v4
	v_mul_lo_u32 v11, s18, v9
	v_mad_u64_u32 v[7:8], s[0:1], s18, v4, 0
	v_add3_u32 v8, v8, v11, v10
	v_sub_u32_e32 v10, v6, v8
	v_mov_b32_e32 v11, s19
	v_sub_co_u32_e32 v7, vcc, v5, v7
	v_subb_co_u32_e64 v10, s[0:1], v10, v11, vcc
	v_subrev_co_u32_e64 v11, s[0:1], s18, v7
	v_subbrev_co_u32_e64 v10, s[0:1], 0, v10, s[0:1]
	v_cmp_le_u32_e64 s[0:1], s19, v10
	v_cndmask_b32_e64 v12, 0, -1, s[0:1]
	v_cmp_le_u32_e64 s[0:1], s18, v11
	v_cndmask_b32_e64 v11, 0, -1, s[0:1]
	v_cmp_eq_u32_e64 s[0:1], s19, v10
	v_cndmask_b32_e64 v10, v12, v11, s[0:1]
	v_add_co_u32_e64 v11, s[0:1], 2, v4
	v_addc_co_u32_e64 v12, s[0:1], 0, v9, s[0:1]
	v_add_co_u32_e64 v13, s[0:1], 1, v4
	v_addc_co_u32_e64 v14, s[0:1], 0, v9, s[0:1]
	v_subb_co_u32_e32 v8, vcc, v6, v8, vcc
	v_cmp_ne_u32_e64 s[0:1], 0, v10
	v_cmp_le_u32_e32 vcc, s19, v8
	v_cndmask_b32_e64 v10, v14, v12, s[0:1]
	v_cndmask_b32_e64 v12, 0, -1, vcc
	v_cmp_le_u32_e32 vcc, s18, v7
	v_cndmask_b32_e64 v7, 0, -1, vcc
	v_cmp_eq_u32_e32 vcc, s19, v8
	v_cndmask_b32_e32 v7, v12, v7, vcc
	v_cmp_ne_u32_e32 vcc, 0, v7
	v_cndmask_b32_e64 v7, v13, v11, s[0:1]
	v_cndmask_b32_e32 v8, v9, v10, vcc
	v_cndmask_b32_e32 v7, v4, v7, vcc
.LBB0_4:                                ;   in Loop: Header=BB0_2 Depth=1
	s_andn2_saveexec_b64 s[0:1], s[20:21]
	s_cbranch_execz .LBB0_6
; %bb.5:                                ;   in Loop: Header=BB0_2 Depth=1
	v_cvt_f32_u32_e32 v4, s18
	s_sub_i32 s20, 0, s18
	v_rcp_iflag_f32_e32 v4, v4
	v_mul_f32_e32 v4, 0x4f7ffffe, v4
	v_cvt_u32_f32_e32 v4, v4
	v_mul_lo_u32 v7, s20, v4
	v_mul_hi_u32 v7, v4, v7
	v_add_u32_e32 v4, v4, v7
	v_mul_hi_u32 v4, v5, v4
	v_mul_lo_u32 v7, v4, s18
	v_add_u32_e32 v8, 1, v4
	v_sub_u32_e32 v7, v5, v7
	v_subrev_u32_e32 v9, s18, v7
	v_cmp_le_u32_e32 vcc, s18, v7
	v_cndmask_b32_e32 v7, v7, v9, vcc
	v_cndmask_b32_e32 v4, v4, v8, vcc
	v_add_u32_e32 v8, 1, v4
	v_cmp_le_u32_e32 vcc, s18, v7
	v_cndmask_b32_e32 v7, v4, v8, vcc
	v_mov_b32_e32 v8, v3
.LBB0_6:                                ;   in Loop: Header=BB0_2 Depth=1
	s_or_b64 exec, exec, s[0:1]
	v_mul_lo_u32 v4, v8, s18
	v_mul_lo_u32 v11, v7, s19
	v_mad_u64_u32 v[9:10], s[0:1], v7, s18, 0
	s_load_dwordx2 s[0:1], s[6:7], 0x0
	s_add_u32 s16, s16, 1
	v_add3_u32 v4, v10, v11, v4
	v_sub_co_u32_e32 v5, vcc, v5, v9
	v_subb_co_u32_e32 v4, vcc, v6, v4, vcc
	s_waitcnt lgkmcnt(0)
	v_mul_lo_u32 v4, s0, v4
	v_mul_lo_u32 v6, s1, v5
	v_mad_u64_u32 v[1:2], s[0:1], s0, v5, v[1:2]
	s_addc_u32 s17, s17, 0
	s_add_u32 s6, s6, 8
	v_add3_u32 v2, v6, v2, v4
	v_mov_b32_e32 v4, s10
	v_mov_b32_e32 v5, s11
	s_addc_u32 s7, s7, 0
	v_cmp_ge_u64_e32 vcc, s[16:17], v[4:5]
	s_add_u32 s14, s14, 8
	s_addc_u32 s15, s15, 0
	s_cbranch_vccnz .LBB0_9
; %bb.7:                                ;   in Loop: Header=BB0_2 Depth=1
	v_mov_b32_e32 v5, v7
	v_mov_b32_e32 v6, v8
	s_branch .LBB0_2
.LBB0_8:
	v_mov_b32_e32 v8, v6
	v_mov_b32_e32 v7, v5
.LBB0_9:
	s_lshl_b64 s[0:1], s[10:11], 3
	s_add_u32 s0, s12, s0
	s_addc_u32 s1, s13, s1
	s_load_dwordx2 s[6:7], s[0:1], 0x0
	s_load_dwordx2 s[10:11], s[4:5], 0x20
	v_mov_b32_e32 v13, 0
	v_mov_b32_e32 v12, 0
	;; [unrolled: 1-line block ×3, first 2 shown]
	s_waitcnt lgkmcnt(0)
	v_mad_u64_u32 v[1:2], s[0:1], s6, v7, v[1:2]
	s_mov_b32 s0, 0x12f684c
	v_mul_lo_u32 v3, s6, v8
	v_mul_lo_u32 v4, s7, v7
	v_mul_hi_u32 v5, v0, s0
	v_cmp_gt_u64_e64 s[0:1], s[10:11], v[7:8]
	v_mov_b32_e32 v7, 0
	v_add3_u32 v2, v4, v2, v3
	v_mul_u32_u24_e32 v3, 0xd8, v5
	v_sub_u32_e32 v3, v0, v3
	v_mov_b32_e32 v5, 0
	v_mov_b32_e32 v0, 0
	;; [unrolled: 1-line block ×5, first 2 shown]
                                        ; implicit-def: $vgpr9
                                        ; implicit-def: $vgpr15
                                        ; implicit-def: $vgpr19
                                        ; implicit-def: $vgpr17
	s_and_saveexec_b64 s[4:5], s[0:1]
	s_cbranch_execz .LBB0_13
; %bb.10:
	s_movk_i32 s6, 0x51
	v_cmp_gt_u32_e32 vcc, s6, v3
	v_mov_b32_e32 v10, 0
	v_mov_b32_e32 v11, 0
	;; [unrolled: 1-line block ×8, first 2 shown]
                                        ; implicit-def: $vgpr16
                                        ; implicit-def: $vgpr18
                                        ; implicit-def: $vgpr14
                                        ; implicit-def: $vgpr8
	s_and_saveexec_b64 s[6:7], vcc
	s_cbranch_execz .LBB0_12
; %bb.11:
	v_lshlrev_b64 v[5:6], 3, v[1:2]
	v_mov_b32_e32 v4, 0
	v_mov_b32_e32 v0, s3
	v_add_co_u32_e32 v7, vcc, s2, v5
	v_lshlrev_b64 v[4:5], 3, v[3:4]
	v_addc_co_u32_e32 v0, vcc, v0, v6, vcc
	v_add_co_u32_e32 v20, vcc, v7, v4
	v_addc_co_u32_e32 v21, vcc, v0, v5, vcc
	v_add_co_u32_e32 v22, vcc, 0x1000, v20
	global_load_dwordx2 v[4:5], v[20:21], off
	global_load_dwordx2 v[12:13], v[20:21], off offset:648
	global_load_dwordx2 v[6:7], v[20:21], off offset:1296
	;; [unrolled: 1-line block ×3, first 2 shown]
	v_addc_co_u32_e32 v23, vcc, 0, v21, vcc
	global_load_dwordx2 v[8:9], v[20:21], off offset:2592
	global_load_dwordx2 v[14:15], v[20:21], off offset:3240
	global_load_dwordx2 v[18:19], v[20:21], off offset:3888
	global_load_dwordx2 v[16:17], v[22:23], off offset:440
.LBB0_12:
	s_or_b64 exec, exec, s[6:7]
	v_mov_b32_e32 v0, v3
.LBB0_13:
	s_or_b64 exec, exec, s[4:5]
	s_waitcnt vmcnt(2)
	v_sub_f32_e32 v14, v12, v14
	v_sub_f32_e32 v20, v13, v15
	s_waitcnt vmcnt(0)
	v_sub_f32_e32 v16, v10, v16
	v_sub_f32_e32 v17, v11, v17
	v_fma_f32 v21, v12, 2.0, -v14
	v_fma_f32 v13, v13, 2.0, -v20
	;; [unrolled: 1-line block ×4, first 2 shown]
	v_sub_f32_e32 v12, v21, v10
	v_sub_f32_e32 v15, v13, v11
	v_add_f32_e32 v10, v14, v17
	v_sub_f32_e32 v11, v20, v16
	v_fma_f32 v14, v14, 2.0, -v10
	v_fma_f32 v16, v20, 2.0, -v11
	s_movk_i32 s4, 0x51
	v_sub_f32_e32 v18, v6, v18
	v_sub_f32_e32 v19, v7, v19
	v_mul_f32_e32 v17, 0x3f3504f3, v14
	v_mul_f32_e32 v20, 0x3f3504f3, v16
	;; [unrolled: 1-line block ×4, first 2 shown]
	v_cmp_gt_u32_e32 vcc, s4, v3
	s_and_saveexec_b64 s[4:5], vcc
	s_cbranch_execz .LBB0_15
; %bb.14:
	v_sub_f32_e32 v8, v4, v8
	v_fma_f32 v4, v4, 2.0, -v8
	v_fma_f32 v6, v6, 2.0, -v18
	v_add_f32_e32 v22, v8, v19
	v_sub_f32_e32 v6, v4, v6
	v_add_f32_e32 v10, v22, v14
	v_add_f32_e32 v11, v16, v10
	;; [unrolled: 1-line block ×3, first 2 shown]
	v_fma_f32 v8, v8, 2.0, -v22
	v_fma_f32 v23, v22, 2.0, -v11
	;; [unrolled: 1-line block ×5, first 2 shown]
	v_sub_f32_e32 v21, v8, v17
	v_add_f32_e32 v25, v20, v21
	v_sub_f32_e32 v24, v4, v6
	v_fma_f32 v27, v8, 2.0, -v25
	v_fma_f32 v26, v4, 2.0, -v24
	v_lshl_add_u32 v4, v3, 5, 0
	ds_write2_b64 v4, v[26:27], v[22:23] offset1:1
	ds_write2_b64 v4, v[24:25], v[10:11] offset0:2 offset1:3
.LBB0_15:
	s_or_b64 exec, exec, s[4:5]
	v_lshl_add_u32 v6, v3, 2, 0
	s_waitcnt lgkmcnt(0)
	s_barrier
	ds_read2_b32 v[10:11], v6 offset1:216
	ds_read_b32 v4, v6 offset:1728
	s_waitcnt lgkmcnt(0)
	s_barrier
	s_and_saveexec_b64 s[4:5], vcc
	s_cbranch_execz .LBB0_17
; %bb.16:
	v_sub_f32_e32 v8, v5, v9
	v_fma_f32 v5, v5, 2.0, -v8
	v_fma_f32 v7, v7, 2.0, -v19
	v_sub_f32_e32 v9, v5, v7
	v_fma_f32 v5, v5, 2.0, -v9
	v_sub_f32_e32 v21, v8, v18
	v_fma_f32 v7, v13, 2.0, -v15
	v_fma_f32 v19, v8, 2.0, -v21
	v_sub_f32_e32 v7, v5, v7
	v_fma_f32 v18, v5, 2.0, -v7
	v_sub_f32_e32 v5, v19, v20
	v_sub_f32_e32 v8, v5, v17
	v_add_f32_e32 v5, v21, v16
	v_sub_f32_e32 v12, v9, v12
	v_sub_f32_e32 v13, v5, v14
	v_fma_f32 v19, v19, 2.0, -v8
	v_fma_f32 v15, v9, 2.0, -v12
	;; [unrolled: 1-line block ×3, first 2 shown]
	v_mad_u32_u24 v5, v3, 28, v6
	ds_write2_b64 v5, v[18:19], v[15:16] offset1:1
	ds_write2_b64 v5, v[7:8], v[12:13] offset0:2 offset1:3
.LBB0_17:
	s_or_b64 exec, exec, s[4:5]
	v_and_b32_e32 v5, 7, v3
	v_lshlrev_b32_e32 v7, 4, v5
	s_waitcnt lgkmcnt(0)
	s_barrier
	global_load_dwordx4 v[12:15], v7, s[8:9]
	ds_read2_b32 v[7:8], v6 offset1:216
	ds_read_b32 v9, v6 offset:1728
	v_lshrrev_b32_e32 v16, 3, v3
	s_movk_i32 s4, 0xab
	v_mul_u32_u24_e32 v16, 24, v16
	v_mul_lo_u16_sdwa v18, v3, s4 dst_sel:DWORD dst_unused:UNUSED_PAD src0_sel:BYTE_0 src1_sel:DWORD
	v_or_b32_e32 v5, v16, v5
	v_lshrrev_b16_e32 v16, 12, v18
	v_lshl_add_u32 v18, v5, 2, 0
	v_mul_lo_u16_e32 v5, 24, v16
	v_sub_u16_e32 v19, v3, v5
	v_mov_b32_e32 v17, 4
	v_lshlrev_b32_sdwa v20, v17, v19 dst_sel:DWORD dst_unused:UNUSED_PAD src0_sel:DWORD src1_sel:BYTE_0
	s_waitcnt vmcnt(0) lgkmcnt(0)
	s_barrier
	v_mul_f32_e32 v5, v8, v13
	v_mul_f32_e32 v13, v11, v13
	;; [unrolled: 1-line block ×4, first 2 shown]
	v_fmac_f32_e32 v5, v11, v12
	v_fma_f32 v8, v8, v12, -v13
	v_fmac_f32_e32 v21, v4, v14
	v_fma_f32 v4, v9, v14, -v15
	v_add_f32_e32 v11, v5, v21
	v_sub_f32_e32 v12, v8, v4
	v_add_f32_e32 v13, v7, v8
	v_add_f32_e32 v8, v8, v4
	;; [unrolled: 1-line block ×3, first 2 shown]
	v_fmac_f32_e32 v10, -0.5, v11
	v_fmac_f32_e32 v7, -0.5, v8
	v_sub_f32_e32 v5, v5, v21
	v_add_f32_e32 v11, v13, v4
	v_mov_b32_e32 v4, v10
	v_mov_b32_e32 v8, v7
	v_add_f32_e32 v9, v9, v21
	v_fmac_f32_e32 v10, 0x3f5db3d7, v12
	v_fmac_f32_e32 v7, 0xbf5db3d7, v5
	;; [unrolled: 1-line block ×4, first 2 shown]
	ds_write_b32 v18, v10 offset:64
	ds_write2_b32 v18, v9, v4 offset1:8
	s_waitcnt lgkmcnt(0)
	s_barrier
	ds_read2_b32 v[4:5], v6 offset1:216
	ds_read_b32 v13, v6 offset:1728
	s_waitcnt lgkmcnt(0)
	s_barrier
	ds_write2_b32 v18, v11, v8 offset1:8
	ds_write_b32 v18, v7 offset:64
	s_waitcnt lgkmcnt(0)
	s_barrier
	global_load_dwordx4 v[7:10], v20, s[8:9] offset:128
	v_mov_b32_e32 v11, 57
	v_mul_lo_u16_sdwa v11, v3, v11 dst_sel:DWORD dst_unused:UNUSED_PAD src0_sel:BYTE_0 src1_sel:DWORD
	v_lshrrev_b16_e32 v15, 12, v11
	v_mov_b32_e32 v14, 2
	v_mul_lo_u16_e32 v12, 0x48, v15
	v_mul_u32_u24_e32 v11, 0x120, v16
	v_sub_u16_e32 v16, v3, v12
	v_lshlrev_b32_sdwa v12, v14, v19 dst_sel:DWORD dst_unused:UNUSED_PAD src0_sel:DWORD src1_sel:BYTE_0
	v_add3_u32 v18, 0, v11, v12
	ds_read2_b32 v[11:12], v6 offset1:216
	ds_read_b32 v19, v6 offset:1728
	v_lshlrev_b32_sdwa v17, v17, v16 dst_sel:DWORD dst_unused:UNUSED_PAD src0_sel:DWORD src1_sel:BYTE_0
	s_waitcnt vmcnt(0) lgkmcnt(0)
	s_barrier
	v_mul_f32_e32 v20, v12, v8
	v_mul_f32_e32 v8, v5, v8
	;; [unrolled: 1-line block ×4, first 2 shown]
	v_fmac_f32_e32 v20, v5, v7
	v_fma_f32 v5, v12, v7, -v8
	v_fmac_f32_e32 v21, v13, v9
	v_fma_f32 v7, v19, v9, -v10
	v_add_f32_e32 v9, v20, v21
	v_sub_f32_e32 v10, v5, v7
	v_add_f32_e32 v12, v11, v5
	v_add_f32_e32 v5, v5, v7
	;; [unrolled: 1-line block ×3, first 2 shown]
	v_fmac_f32_e32 v4, -0.5, v9
	v_fmac_f32_e32 v11, -0.5, v5
	v_sub_f32_e32 v13, v20, v21
	v_mov_b32_e32 v5, v4
	v_mov_b32_e32 v9, v11
	v_add_f32_e32 v8, v8, v21
	v_add_f32_e32 v7, v12, v7
	v_fmac_f32_e32 v4, 0x3f5db3d7, v10
	v_fmac_f32_e32 v5, 0xbf5db3d7, v10
	v_fmac_f32_e32 v9, 0x3f5db3d7, v13
	v_fmac_f32_e32 v11, 0xbf5db3d7, v13
	ds_write_b32 v18, v4 offset:192
	ds_write2_b32 v18, v8, v5 offset1:24
	s_waitcnt lgkmcnt(0)
	s_barrier
	ds_read2_b32 v[4:5], v6 offset1:216
	ds_read_b32 v13, v6 offset:1728
	s_waitcnt lgkmcnt(0)
	s_barrier
	ds_write2_b32 v18, v7, v9 offset1:24
	ds_write_b32 v18, v11 offset:192
	s_waitcnt lgkmcnt(0)
	s_barrier
	global_load_dwordx4 v[7:10], v17, s[8:9] offset:512
	v_mul_u32_u24_e32 v11, 0x360, v15
	v_lshlrev_b32_sdwa v12, v14, v16 dst_sel:DWORD dst_unused:UNUSED_PAD src0_sel:DWORD src1_sel:BYTE_0
	v_add3_u32 v14, 0, v11, v12
	ds_read2_b32 v[11:12], v6 offset1:216
	ds_read_b32 v15, v6 offset:1728
	s_waitcnt vmcnt(0) lgkmcnt(0)
	s_barrier
	v_mul_f32_e32 v16, v12, v8
	v_mul_f32_e32 v17, v15, v10
	;; [unrolled: 1-line block ×4, first 2 shown]
	v_fmac_f32_e32 v16, v5, v7
	v_fmac_f32_e32 v17, v13, v9
	v_fma_f32 v5, v12, v7, -v8
	v_fma_f32 v7, v15, v9, -v10
	v_add_f32_e32 v9, v16, v17
	v_add_f32_e32 v8, v4, v16
	v_sub_f32_e32 v10, v5, v7
	v_add_f32_e32 v12, v11, v5
	v_add_f32_e32 v5, v5, v7
	v_fmac_f32_e32 v4, -0.5, v9
	v_fmac_f32_e32 v11, -0.5, v5
	v_mov_b32_e32 v5, v4
	v_fmac_f32_e32 v4, 0x3f5db3d7, v10
	v_fmac_f32_e32 v5, 0xbf5db3d7, v10
	v_add_f32_e32 v8, v8, v17
	v_add_f32_e32 v9, v12, v7
	ds_write_b32 v14, v4 offset:576
	ds_write2_b32 v14, v8, v5 offset1:72
	s_waitcnt lgkmcnt(0)
	s_barrier
	ds_read2_b32 v[4:5], v6 offset1:216
	ds_read_b32 v7, v6 offset:1728
	v_sub_f32_e32 v13, v16, v17
	v_mov_b32_e32 v12, v11
	v_fmac_f32_e32 v12, 0x3f5db3d7, v13
	v_fmac_f32_e32 v11, 0xbf5db3d7, v13
	s_waitcnt lgkmcnt(0)
	s_barrier
	ds_write2_b32 v14, v9, v12 offset1:72
	ds_write_b32 v14, v11 offset:576
	s_waitcnt lgkmcnt(0)
	s_barrier
	s_and_saveexec_b64 s[4:5], s[0:1]
	s_cbranch_execz .LBB0_19
; %bb.18:
	v_lshlrev_b32_e32 v11, 1, v3
	v_mov_b32_e32 v12, 0
	v_lshlrev_b64 v[8:9], 3, v[11:12]
	v_mov_b32_e32 v3, s9
	v_add_co_u32_e32 v8, vcc, s8, v8
	v_addc_co_u32_e32 v9, vcc, v3, v9, vcc
	global_load_dwordx4 v[8:11], v[8:9], off offset:1664
	ds_read2_b32 v[13:14], v6 offset1:216
	ds_read_b32 v6, v6 offset:1728
	v_lshlrev_b64 v[2:3], 3, v[1:2]
	v_mov_b32_e32 v1, v12
	v_mov_b32_e32 v15, s3
	v_add_co_u32_e32 v2, vcc, s2, v2
	v_lshlrev_b64 v[0:1], 3, v[0:1]
	v_addc_co_u32_e32 v3, vcc, v15, v3, vcc
	v_add_co_u32_e32 v0, vcc, v2, v0
	v_addc_co_u32_e32 v1, vcc, v3, v1, vcc
	s_waitcnt vmcnt(0)
	v_mul_f32_e32 v2, v5, v9
	v_mul_f32_e32 v3, v7, v11
	s_waitcnt lgkmcnt(1)
	v_mul_f32_e32 v9, v14, v9
	s_waitcnt lgkmcnt(0)
	v_mul_f32_e32 v11, v6, v11
	v_fma_f32 v2, v14, v8, -v2
	v_fma_f32 v6, v6, v10, -v3
	v_fmac_f32_e32 v9, v5, v8
	v_fmac_f32_e32 v11, v7, v10
	v_add_f32_e32 v3, v2, v6
	v_add_f32_e32 v5, v9, v11
	v_sub_f32_e32 v8, v9, v11
	v_sub_f32_e32 v10, v2, v6
	v_add_f32_e32 v7, v13, v2
	v_add_f32_e32 v9, v4, v9
	v_fma_f32 v3, -0.5, v3, v13
	v_fma_f32 v2, -0.5, v5, v4
	v_add_f32_e32 v5, v7, v6
	v_add_f32_e32 v4, v9, v11
	v_mov_b32_e32 v7, v3
	v_mov_b32_e32 v6, v2
	v_fmac_f32_e32 v3, 0x3f5db3d7, v8
	v_fmac_f32_e32 v2, 0xbf5db3d7, v10
	global_store_dwordx2 v[0:1], v[4:5], off
	v_fmac_f32_e32 v7, 0xbf5db3d7, v8
	v_fmac_f32_e32 v6, 0x3f5db3d7, v10
	global_store_dwordx2 v[0:1], v[2:3], off offset:1728
	global_store_dwordx2 v[0:1], v[6:7], off offset:3456
.LBB0_19:
	s_endpgm
	.section	.rodata,"a",@progbits
	.p2align	6, 0x0
	.amdhsa_kernel fft_rtc_back_len648_factors_8_3_3_3_3_wgs_216_tpt_216_halfLds_sp_ip_CI_unitstride_sbrr_dirReg
		.amdhsa_group_segment_fixed_size 0
		.amdhsa_private_segment_fixed_size 0
		.amdhsa_kernarg_size 88
		.amdhsa_user_sgpr_count 6
		.amdhsa_user_sgpr_private_segment_buffer 1
		.amdhsa_user_sgpr_dispatch_ptr 0
		.amdhsa_user_sgpr_queue_ptr 0
		.amdhsa_user_sgpr_kernarg_segment_ptr 1
		.amdhsa_user_sgpr_dispatch_id 0
		.amdhsa_user_sgpr_flat_scratch_init 0
		.amdhsa_user_sgpr_private_segment_size 0
		.amdhsa_uses_dynamic_stack 0
		.amdhsa_system_sgpr_private_segment_wavefront_offset 0
		.amdhsa_system_sgpr_workgroup_id_x 1
		.amdhsa_system_sgpr_workgroup_id_y 0
		.amdhsa_system_sgpr_workgroup_id_z 0
		.amdhsa_system_sgpr_workgroup_info 0
		.amdhsa_system_vgpr_workitem_id 0
		.amdhsa_next_free_vgpr 28
		.amdhsa_next_free_sgpr 22
		.amdhsa_reserve_vcc 1
		.amdhsa_reserve_flat_scratch 0
		.amdhsa_float_round_mode_32 0
		.amdhsa_float_round_mode_16_64 0
		.amdhsa_float_denorm_mode_32 3
		.amdhsa_float_denorm_mode_16_64 3
		.amdhsa_dx10_clamp 1
		.amdhsa_ieee_mode 1
		.amdhsa_fp16_overflow 0
		.amdhsa_exception_fp_ieee_invalid_op 0
		.amdhsa_exception_fp_denorm_src 0
		.amdhsa_exception_fp_ieee_div_zero 0
		.amdhsa_exception_fp_ieee_overflow 0
		.amdhsa_exception_fp_ieee_underflow 0
		.amdhsa_exception_fp_ieee_inexact 0
		.amdhsa_exception_int_div_zero 0
	.end_amdhsa_kernel
	.text
.Lfunc_end0:
	.size	fft_rtc_back_len648_factors_8_3_3_3_3_wgs_216_tpt_216_halfLds_sp_ip_CI_unitstride_sbrr_dirReg, .Lfunc_end0-fft_rtc_back_len648_factors_8_3_3_3_3_wgs_216_tpt_216_halfLds_sp_ip_CI_unitstride_sbrr_dirReg
                                        ; -- End function
	.section	.AMDGPU.csdata,"",@progbits
; Kernel info:
; codeLenInByte = 2896
; NumSgprs: 26
; NumVgprs: 28
; ScratchSize: 0
; MemoryBound: 0
; FloatMode: 240
; IeeeMode: 1
; LDSByteSize: 0 bytes/workgroup (compile time only)
; SGPRBlocks: 3
; VGPRBlocks: 6
; NumSGPRsForWavesPerEU: 26
; NumVGPRsForWavesPerEU: 28
; Occupancy: 9
; WaveLimiterHint : 1
; COMPUTE_PGM_RSRC2:SCRATCH_EN: 0
; COMPUTE_PGM_RSRC2:USER_SGPR: 6
; COMPUTE_PGM_RSRC2:TRAP_HANDLER: 0
; COMPUTE_PGM_RSRC2:TGID_X_EN: 1
; COMPUTE_PGM_RSRC2:TGID_Y_EN: 0
; COMPUTE_PGM_RSRC2:TGID_Z_EN: 0
; COMPUTE_PGM_RSRC2:TIDIG_COMP_CNT: 0
	.type	__hip_cuid_a3fc786b8f9ffda,@object ; @__hip_cuid_a3fc786b8f9ffda
	.section	.bss,"aw",@nobits
	.globl	__hip_cuid_a3fc786b8f9ffda
__hip_cuid_a3fc786b8f9ffda:
	.byte	0                               ; 0x0
	.size	__hip_cuid_a3fc786b8f9ffda, 1

	.ident	"AMD clang version 19.0.0git (https://github.com/RadeonOpenCompute/llvm-project roc-6.4.0 25133 c7fe45cf4b819c5991fe208aaa96edf142730f1d)"
	.section	".note.GNU-stack","",@progbits
	.addrsig
	.addrsig_sym __hip_cuid_a3fc786b8f9ffda
	.amdgpu_metadata
---
amdhsa.kernels:
  - .args:
      - .actual_access:  read_only
        .address_space:  global
        .offset:         0
        .size:           8
        .value_kind:     global_buffer
      - .offset:         8
        .size:           8
        .value_kind:     by_value
      - .actual_access:  read_only
        .address_space:  global
        .offset:         16
        .size:           8
        .value_kind:     global_buffer
      - .actual_access:  read_only
        .address_space:  global
        .offset:         24
        .size:           8
        .value_kind:     global_buffer
      - .offset:         32
        .size:           8
        .value_kind:     by_value
      - .actual_access:  read_only
        .address_space:  global
        .offset:         40
        .size:           8
        .value_kind:     global_buffer
      - .actual_access:  read_only
        .address_space:  global
        .offset:         48
        .size:           8
        .value_kind:     global_buffer
      - .offset:         56
        .size:           4
        .value_kind:     by_value
      - .actual_access:  read_only
        .address_space:  global
        .offset:         64
        .size:           8
        .value_kind:     global_buffer
      - .actual_access:  read_only
        .address_space:  global
        .offset:         72
        .size:           8
        .value_kind:     global_buffer
      - .address_space:  global
        .offset:         80
        .size:           8
        .value_kind:     global_buffer
    .group_segment_fixed_size: 0
    .kernarg_segment_align: 8
    .kernarg_segment_size: 88
    .language:       OpenCL C
    .language_version:
      - 2
      - 0
    .max_flat_workgroup_size: 216
    .name:           fft_rtc_back_len648_factors_8_3_3_3_3_wgs_216_tpt_216_halfLds_sp_ip_CI_unitstride_sbrr_dirReg
    .private_segment_fixed_size: 0
    .sgpr_count:     26
    .sgpr_spill_count: 0
    .symbol:         fft_rtc_back_len648_factors_8_3_3_3_3_wgs_216_tpt_216_halfLds_sp_ip_CI_unitstride_sbrr_dirReg.kd
    .uniform_work_group_size: 1
    .uses_dynamic_stack: false
    .vgpr_count:     28
    .vgpr_spill_count: 0
    .wavefront_size: 64
amdhsa.target:   amdgcn-amd-amdhsa--gfx906
amdhsa.version:
  - 1
  - 2
...

	.end_amdgpu_metadata
